;; amdgpu-corpus repo=ROCm/rocFFT kind=compiled arch=gfx1201 opt=O3
	.text
	.amdgcn_target "amdgcn-amd-amdhsa--gfx1201"
	.amdhsa_code_object_version 6
	.protected	fft_rtc_fwd_len100_factors_5_5_4_wgs_120_tpt_20_dim1_sp_op_CI_CI_unitstride_sbrr_R2C_dirReg ; -- Begin function fft_rtc_fwd_len100_factors_5_5_4_wgs_120_tpt_20_dim1_sp_op_CI_CI_unitstride_sbrr_R2C_dirReg
	.globl	fft_rtc_fwd_len100_factors_5_5_4_wgs_120_tpt_20_dim1_sp_op_CI_CI_unitstride_sbrr_R2C_dirReg
	.p2align	8
	.type	fft_rtc_fwd_len100_factors_5_5_4_wgs_120_tpt_20_dim1_sp_op_CI_CI_unitstride_sbrr_R2C_dirReg,@function
fft_rtc_fwd_len100_factors_5_5_4_wgs_120_tpt_20_dim1_sp_op_CI_CI_unitstride_sbrr_R2C_dirReg: ; @fft_rtc_fwd_len100_factors_5_5_4_wgs_120_tpt_20_dim1_sp_op_CI_CI_unitstride_sbrr_R2C_dirReg
; %bb.0:
	v_mul_u32_u24_e32 v1, 0xccd, v0
	s_clause 0x1
	s_load_b64 s[2:3], s[0:1], 0x20
	s_load_b64 s[4:5], s[0:1], 0x0
                                        ; implicit-def: $vgpr9
                                        ; implicit-def: $vgpr8
	s_delay_alu instid0(VALU_DEP_1) | instskip(NEXT) | instid1(VALU_DEP_1)
	v_lshrrev_b32_e32 v1, 16, v1
	v_mad_co_u64_u32 v[10:11], null, ttmp9, 6, v[1:2]
	v_mov_b32_e32 v11, 0
	s_delay_alu instid0(VALU_DEP_2) | instskip(SKIP_1) | instid1(VALU_DEP_2)
	v_mul_hi_u32 v2, 0xaaaaaaab, v10
	s_wait_kmcnt 0x0
	v_cmp_gt_u64_e32 vcc_lo, s[2:3], v[10:11]
	v_cmp_le_u64_e64 s2, s[2:3], v[10:11]
                                        ; implicit-def: $vgpr11
	s_delay_alu instid0(VALU_DEP_3) | instskip(NEXT) | instid1(VALU_DEP_1)
	v_lshrrev_b32_e32 v2, 2, v2
	v_mul_lo_u32 v2, v2, 6
	s_delay_alu instid0(VALU_DEP_1) | instskip(NEXT) | instid1(VALU_DEP_4)
	v_sub_nc_u32_e32 v2, v10, v2
	s_and_saveexec_b32 s3, s2
	s_wait_alu 0xfffe
	s_xor_b32 s2, exec_lo, s3
; %bb.1:
	v_and_b32_e32 v1, 0xffff, v0
	s_delay_alu instid0(VALU_DEP_1) | instskip(NEXT) | instid1(VALU_DEP_1)
	v_mul_u32_u24_e32 v1, 0xccd, v1
	v_lshrrev_b32_e32 v1, 16, v1
	s_delay_alu instid0(VALU_DEP_1) | instskip(NEXT) | instid1(VALU_DEP_1)
	v_mul_lo_u16 v1, v1, 20
	v_sub_nc_u16 v9, v0, v1
                                        ; implicit-def: $vgpr1
                                        ; implicit-def: $vgpr0
	s_delay_alu instid0(VALU_DEP_1) | instskip(NEXT) | instid1(VALU_DEP_1)
	v_and_b32_e32 v8, 0xffff, v9
	v_add_nc_u32_e32 v11, 20, v8
; %bb.2:
	s_wait_alu 0xfffe
	s_or_saveexec_b32 s3, s2
	s_load_b64 s[6:7], s[0:1], 0x18
	v_mul_u32_u24_e32 v2, 0x65, v2
	s_delay_alu instid0(VALU_DEP_1)
	v_lshlrev_b32_e32 v2, 3, v2
	s_xor_b32 exec_lo, exec_lo, s3
	s_cbranch_execz .LBB0_4
; %bb.3:
	s_clause 0x1
	s_load_b64 s[8:9], s[0:1], 0x10
	s_load_b64 s[10:11], s[0:1], 0x50
	v_mul_lo_u16 v1, v1, 20
	s_delay_alu instid0(VALU_DEP_1) | instskip(NEXT) | instid1(VALU_DEP_1)
	v_sub_nc_u16 v9, v0, v1
	v_and_b32_e32 v8, 0xffff, v9
	s_delay_alu instid0(VALU_DEP_1)
	v_lshlrev_b32_e32 v7, 3, v8
	v_add_nc_u32_e32 v11, 20, v8
	s_wait_kmcnt 0x0
	s_load_b64 s[8:9], s[8:9], 0x8
	s_wait_kmcnt 0x0
	v_mad_co_u64_u32 v[3:4], null, s8, v10, 0
	s_delay_alu instid0(VALU_DEP_1) | instskip(NEXT) | instid1(VALU_DEP_1)
	v_mad_co_u64_u32 v[4:5], null, s9, v10, v[4:5]
	v_lshlrev_b64_e32 v[0:1], 3, v[3:4]
	s_delay_alu instid0(VALU_DEP_1) | instskip(SKIP_1) | instid1(VALU_DEP_2)
	v_add_co_u32 v0, s2, s10, v0
	s_wait_alu 0xf1ff
	v_add_co_ci_u32_e64 v1, s2, s11, v1, s2
	s_delay_alu instid0(VALU_DEP_2) | instskip(SKIP_1) | instid1(VALU_DEP_2)
	v_add_co_u32 v0, s2, v0, v7
	s_wait_alu 0xf1ff
	v_add_co_ci_u32_e64 v1, s2, 0, v1, s2
	v_add3_u32 v7, 0, v2, v7
	s_clause 0x4
	global_load_b64 v[3:4], v[0:1], off
	global_load_b64 v[5:6], v[0:1], off offset:160
	global_load_b64 v[12:13], v[0:1], off offset:320
	;; [unrolled: 1-line block ×4, first 2 shown]
	s_wait_loadcnt 0x3
	ds_store_2addr_b64 v7, v[3:4], v[5:6] offset1:20
	s_wait_loadcnt 0x1
	ds_store_2addr_b64 v7, v[12:13], v[14:15] offset0:40 offset1:60
	s_wait_loadcnt 0x0
	ds_store_b64 v7, v[0:1] offset:640
.LBB0_4:
	s_or_b32 exec_lo, exec_lo, s3
	s_delay_alu instid0(VALU_DEP_1)
	v_add_nc_u32_e32 v20, 0, v2
	v_lshlrev_b32_e32 v22, 3, v8
	s_wait_kmcnt 0x0
	s_load_b64 s[6:7], s[6:7], 0x8
	global_wb scope:SCOPE_SE
	s_wait_dscnt 0x0
	s_wait_kmcnt 0x0
	s_barrier_signal -1
	s_barrier_wait -1
	v_add_nc_u32_e32 v21, v20, v22
	v_add3_u32 v23, 0, v22, v2
	global_inv scope:SCOPE_SE
	v_cmp_gt_u16_e64 s2, 5, v9
	ds_load_b64 v[0:1], v21
	ds_load_2addr_b64 v[3:6], v23 offset0:20 offset1:40
	ds_load_2addr_b64 v[12:15], v23 offset0:60 offset1:80
	global_wb scope:SCOPE_SE
	s_wait_dscnt 0x0
	s_barrier_signal -1
	s_barrier_wait -1
	global_inv scope:SCOPE_SE
	v_dual_add_f32 v7, v0, v3 :: v_dual_add_f32 v16, v5, v12
	v_dual_sub_f32 v26, v6, v13 :: v_dual_add_f32 v19, v3, v14
	v_dual_sub_f32 v24, v5, v3 :: v_dual_sub_f32 v27, v12, v14
	s_delay_alu instid0(VALU_DEP_3) | instskip(SKIP_1) | instid1(VALU_DEP_4)
	v_fma_f32 v16, -0.5, v16, v0
	v_sub_f32_e32 v25, v4, v15
	v_fma_f32 v0, -0.5, v19, v0
	v_dual_sub_f32 v17, v3, v5 :: v_dual_sub_f32 v18, v14, v12
	v_dual_add_f32 v28, v1, v4 :: v_dual_add_f32 v29, v6, v13
	v_dual_sub_f32 v3, v3, v14 :: v_dual_sub_f32 v30, v5, v12
	v_add_f32_e32 v5, v7, v5
	v_dual_add_f32 v27, v24, v27 :: v_dual_fmamk_f32 v24, v26, 0xbf737871, v0
	v_dual_fmac_f32 v0, 0x3f737871, v26 :: v_dual_add_f32 v33, v4, v15
	v_add_f32_e32 v7, v17, v18
	s_delay_alu instid0(VALU_DEP_3) | instskip(SKIP_3) | instid1(VALU_DEP_4)
	v_dual_add_f32 v19, v28, v6 :: v_dual_fmac_f32 v24, 0x3f167918, v25
	v_fma_f32 v17, -0.5, v29, v1
	v_add_f32_e32 v5, v5, v12
	v_fmamk_f32 v18, v25, 0x3f737871, v16
	v_add_f32_e32 v12, v19, v13
	s_delay_alu instid0(VALU_DEP_4) | instskip(SKIP_1) | instid1(VALU_DEP_4)
	v_dual_fmac_f32 v16, 0xbf737871, v25 :: v_dual_fmamk_f32 v19, v3, 0xbf737871, v17
	v_dual_sub_f32 v31, v4, v6 :: v_dual_sub_f32 v32, v15, v13
	v_fmac_f32_e32 v18, 0x3f167918, v26
	s_delay_alu instid0(VALU_DEP_3) | instskip(SKIP_3) | instid1(VALU_DEP_4)
	v_dual_fmac_f32 v16, 0xbf167918, v26 :: v_dual_fmac_f32 v1, -0.5, v33
	v_dual_add_f32 v26, v5, v14 :: v_dual_and_b32 v5, 0xff, v9
	v_sub_f32_e32 v4, v6, v4
	v_dual_fmac_f32 v0, 0xbf167918, v25 :: v_dual_fmac_f32 v19, 0xbf167918, v30
	v_dual_fmamk_f32 v25, v30, 0x3f737871, v1 :: v_dual_sub_f32 v6, v13, v15
	s_delay_alu instid0(VALU_DEP_4) | instskip(SKIP_2) | instid1(VALU_DEP_4)
	v_mul_lo_u16 v5, 0xcd, v5
	v_fmac_f32_e32 v1, 0xbf737871, v30
	v_fmac_f32_e32 v17, 0x3f737871, v3
	;; [unrolled: 1-line block ×4, first 2 shown]
	v_lshrrev_b16 v28, 10, v5
	v_dual_fmac_f32 v1, 0x3f167918, v3 :: v_dual_add_f32 v4, v4, v6
	v_fmac_f32_e32 v16, 0x3e9e377a, v7
	v_fmac_f32_e32 v24, 0x3e9e377a, v27
	s_delay_alu instid0(VALU_DEP_4)
	v_mul_lo_u16 v3, v28, 5
	v_add_f32_e32 v27, v12, v15
	v_dual_fmac_f32 v1, 0x3e9e377a, v4 :: v_dual_fmac_f32 v18, 0x3e9e377a, v7
	v_add_f32_e32 v7, v31, v32
	v_fmac_f32_e32 v17, 0x3f167918, v30
	v_sub_nc_u16 v3, v9, v3
	v_fmac_f32_e32 v25, 0x3e9e377a, v4
	v_lshl_add_u32 v4, v8, 5, v23
	v_fmac_f32_e32 v19, 0x3e9e377a, v7
	v_fmac_f32_e32 v17, 0x3e9e377a, v7
	v_and_b32_e32 v7, 0xff, v3
	ds_store_2addr_b64 v4, v[26:27], v[18:19] offset1:1
	ds_store_2addr_b64 v4, v[24:25], v[0:1] offset0:2 offset1:3
	ds_store_b64 v4, v[16:17] offset:32
	global_wb scope:SCOPE_SE
	s_wait_dscnt 0x0
	v_lshlrev_b32_e32 v0, 5, v7
	s_barrier_signal -1
	s_barrier_wait -1
	global_inv scope:SCOPE_SE
	s_clause 0x1
	global_load_b128 v[3:6], v0, s[4:5]
	global_load_b128 v[12:15], v0, s[4:5] offset:16
	v_lshl_add_u32 v24, v11, 3, v20
	ds_load_b64 v[0:1], v24
	ds_load_2addr_b64 v[16:19], v23 offset0:40 offset1:60
	ds_load_b64 v[25:26], v23 offset:640
	v_and_b32_e32 v27, 0xffff, v28
	v_lshlrev_b32_e32 v7, 3, v7
	s_wait_loadcnt_dscnt 0x1
	v_mul_f32_e32 v30, v13, v19
	s_delay_alu instid0(VALU_DEP_3)
	v_mad_u32_u24 v29, 0xc8, v27, 0
	ds_load_2addr_b32 v[27:28], v21 offset1:1
	global_wb scope:SCOPE_SE
	s_wait_dscnt 0x0
	s_barrier_signal -1
	s_barrier_wait -1
	v_add3_u32 v7, v29, v7, v2
	v_mul_f32_e32 v2, v4, v1
	v_dual_mul_f32 v4, v4, v0 :: v_dual_mul_f32 v29, v6, v17
	v_mul_f32_e32 v6, v6, v16
	global_inv scope:SCOPE_SE
	v_fma_f32 v0, v3, v0, -v2
	v_dual_fmac_f32 v4, v3, v1 :: v_dual_mul_f32 v31, v13, v18
	v_dual_fmac_f32 v6, v5, v17 :: v_dual_mul_f32 v13, v15, v26
	v_mul_f32_e32 v15, v15, v25
	v_fma_f32 v1, v5, v16, -v29
	v_fma_f32 v2, v12, v18, -v30
	s_delay_alu instid0(VALU_DEP_4) | instskip(NEXT) | instid1(VALU_DEP_4)
	v_fma_f32 v5, v14, v25, -v13
	v_fmac_f32_e32 v15, v14, v26
	v_add_f32_e32 v3, v0, v27
	v_add_f32_e32 v26, v28, v4
	v_sub_f32_e32 v32, v1, v2
	v_sub_f32_e32 v30, v0, v5
	;; [unrolled: 1-line block ×3, first 2 shown]
	v_dual_fmac_f32 v31, v12, v19 :: v_dual_add_f32 v12, v1, v2
	v_dual_sub_f32 v17, v5, v2 :: v_dual_add_f32 v34, v4, v15
	v_sub_f32_e32 v13, v0, v1
	v_dual_add_f32 v18, v0, v5 :: v_dual_sub_f32 v19, v1, v0
	v_sub_f32_e32 v0, v4, v6
	v_sub_f32_e32 v4, v6, v4
	v_fma_f32 v12, -0.5, v12, v27
	v_add_f32_e32 v1, v3, v1
	v_sub_f32_e32 v25, v2, v5
	v_add_f32_e32 v29, v6, v31
	v_sub_f32_e32 v16, v6, v31
	v_sub_f32_e32 v33, v15, v31
	;; [unrolled: 1-line block ×3, first 2 shown]
	v_fma_f32 v27, -0.5, v18, v27
	v_add_f32_e32 v17, v13, v17
	v_add_f32_e32 v18, v19, v25
	v_fma_f32 v13, -0.5, v29, v28
	v_fmac_f32_e32 v28, -0.5, v34
	v_dual_add_f32 v3, v26, v6 :: v_dual_add_f32 v6, v0, v33
	v_dual_fmamk_f32 v0, v14, 0x3f737871, v12 :: v_dual_add_f32 v19, v4, v35
	v_fmac_f32_e32 v12, 0xbf737871, v14
	v_dual_add_f32 v4, v1, v2 :: v_dual_fmamk_f32 v1, v30, 0xbf737871, v13
	s_delay_alu instid0(VALU_DEP_3) | instskip(SKIP_1) | instid1(VALU_DEP_3)
	v_fmac_f32_e32 v0, 0x3f167918, v16
	v_fmamk_f32 v2, v16, 0xbf737871, v27
	v_dual_fmac_f32 v27, 0x3f737871, v16 :: v_dual_add_f32 v4, v4, v5
	v_dual_add_f32 v25, v3, v31 :: v_dual_fmac_f32 v12, 0xbf167918, v16
	v_fmac_f32_e32 v13, 0x3f737871, v30
	v_fmamk_f32 v3, v32, 0x3f737871, v28
	v_fmac_f32_e32 v28, 0xbf737871, v32
	v_fmac_f32_e32 v1, 0xbf167918, v32
	v_dual_fmac_f32 v2, 0x3f167918, v14 :: v_dual_add_f32 v5, v25, v15
	v_fmac_f32_e32 v27, 0xbf167918, v14
	s_delay_alu instid0(VALU_DEP_4) | instskip(SKIP_1) | instid1(VALU_DEP_3)
	v_dual_fmac_f32 v13, 0x3f167918, v32 :: v_dual_fmac_f32 v28, 0x3f167918, v30
	v_fmac_f32_e32 v3, 0xbf167918, v30
	v_dual_fmac_f32 v0, 0x3e9e377a, v17 :: v_dual_fmac_f32 v27, 0x3e9e377a, v18
	v_dual_fmac_f32 v12, 0x3e9e377a, v17 :: v_dual_fmac_f32 v1, 0x3e9e377a, v6
	s_delay_alu instid0(VALU_DEP_3)
	v_dual_fmac_f32 v2, 0x3e9e377a, v18 :: v_dual_fmac_f32 v3, 0x3e9e377a, v19
	v_dual_fmac_f32 v28, 0x3e9e377a, v19 :: v_dual_fmac_f32 v13, 0x3e9e377a, v6
	ds_store_2addr_b64 v7, v[4:5], v[0:1] offset1:5
	ds_store_2addr_b64 v7, v[2:3], v[27:28] offset0:10 offset1:15
	ds_store_b64 v7, v[12:13] offset:160
	global_wb scope:SCOPE_SE
	s_wait_dscnt 0x0
	s_barrier_signal -1
	s_barrier_wait -1
	global_inv scope:SCOPE_SE
	ds_load_2addr_b64 v[4:7], v23 offset0:25 offset1:50
	ds_load_b64 v[16:17], v21
	ds_load_b64 v[18:19], v23 offset:600
                                        ; implicit-def: $vgpr15
                                        ; implicit-def: $vgpr3
	s_and_saveexec_b32 s3, s2
	s_cbranch_execz .LBB0_6
; %bb.5:
	ds_load_2addr_b64 v[0:3], v23 offset0:45 offset1:70
	ds_load_b64 v[12:13], v24
	ds_load_b64 v[14:15], v23 offset:760
.LBB0_6:
	s_wait_alu 0xfffe
	s_or_b32 exec_lo, exec_lo, s3
	v_mul_u32_u24_e32 v25, 3, v8
	s_delay_alu instid0(VALU_DEP_1)
	v_lshlrev_b32_e32 v29, 3, v25
	s_clause 0x1
	global_load_b128 v[25:28], v29, s[4:5] offset:160
	global_load_b64 v[29:30], v29, s[4:5] offset:176
	global_wb scope:SCOPE_SE
	s_wait_loadcnt_dscnt 0x0
	s_barrier_signal -1
	s_barrier_wait -1
	global_inv scope:SCOPE_SE
	v_dual_mul_f32 v31, v26, v5 :: v_dual_mul_f32 v32, v28, v7
	v_mul_f32_e32 v26, v26, v4
	v_dual_mul_f32 v28, v28, v6 :: v_dual_mul_f32 v33, v30, v19
	s_delay_alu instid0(VALU_DEP_3) | instskip(NEXT) | instid1(VALU_DEP_3)
	v_fma_f32 v4, v25, v4, -v31
	v_fmac_f32_e32 v26, v25, v5
	v_fma_f32 v5, v27, v6, -v32
	s_delay_alu instid0(VALU_DEP_4) | instskip(SKIP_2) | instid1(VALU_DEP_4)
	v_fmac_f32_e32 v28, v27, v7
	v_mul_f32_e32 v30, v30, v18
	v_fma_f32 v6, v29, v18, -v33
	v_sub_f32_e32 v18, v16, v5
	s_delay_alu instid0(VALU_DEP_2) | instskip(SKIP_1) | instid1(VALU_DEP_3)
	v_dual_sub_f32 v5, v4, v6 :: v_dual_fmac_f32 v30, v29, v19
	v_sub_f32_e32 v19, v17, v28
	v_fma_f32 v25, v16, 2.0, -v18
	s_delay_alu instid0(VALU_DEP_3) | instskip(NEXT) | instid1(VALU_DEP_3)
	v_fma_f32 v7, v4, 2.0, -v5
	v_dual_add_f32 v5, v19, v5 :: v_dual_sub_f32 v6, v26, v30
	v_fma_f32 v27, v17, 2.0, -v19
	s_delay_alu instid0(VALU_DEP_2) | instskip(NEXT) | instid1(VALU_DEP_3)
	v_fma_f32 v17, v19, 2.0, -v5
	v_fma_f32 v16, v26, 2.0, -v6
	v_sub_f32_e32 v4, v18, v6
	s_delay_alu instid0(VALU_DEP_2) | instskip(NEXT) | instid1(VALU_DEP_2)
	v_dual_sub_f32 v6, v25, v7 :: v_dual_sub_f32 v7, v27, v16
	v_fma_f32 v16, v18, 2.0, -v4
	s_delay_alu instid0(VALU_DEP_2) | instskip(NEXT) | instid1(VALU_DEP_3)
	v_fma_f32 v18, v25, 2.0, -v6
	v_fma_f32 v19, v27, 2.0, -v7
	ds_store_2addr_b64 v23, v[18:19], v[16:17] offset1:25
	ds_store_2addr_b64 v23, v[6:7], v[4:5] offset0:50 offset1:75
	s_and_saveexec_b32 s3, s2
	s_cbranch_execz .LBB0_8
; %bb.7:
	v_dual_mov_b32 v5, 0 :: v_dual_add_nc_u32 v4, -5, v8
	s_delay_alu instid0(VALU_DEP_1) | instskip(NEXT) | instid1(VALU_DEP_1)
	v_cndmask_b32_e64 v4, v4, v11, s2
	v_mul_i32_i24_e32 v4, 3, v4
	s_delay_alu instid0(VALU_DEP_1) | instskip(NEXT) | instid1(VALU_DEP_1)
	v_lshlrev_b64_e32 v[4:5], 3, v[4:5]
	v_add_co_u32 v16, s2, s4, v4
	s_wait_alu 0xf1ff
	s_delay_alu instid0(VALU_DEP_2)
	v_add_co_ci_u32_e64 v17, s2, s5, v5, s2
	s_clause 0x1
	global_load_b128 v[4:7], v[16:17], off offset:160
	global_load_b64 v[16:17], v[16:17], off offset:176
	s_wait_loadcnt 0x1
	v_dual_mul_f32 v18, v2, v7 :: v_dual_mul_f32 v19, v1, v5
	v_mul_f32_e32 v5, v0, v5
	v_mul_f32_e32 v7, v3, v7
	s_delay_alu instid0(VALU_DEP_3)
	v_fmac_f32_e32 v18, v3, v6
	s_wait_loadcnt 0x0
	v_mul_f32_e32 v25, v15, v17
	v_fmac_f32_e32 v5, v1, v4
	v_fma_f32 v1, v2, v6, -v7
	v_mul_f32_e32 v17, v14, v17
	v_fma_f32 v0, v0, v4, -v19
	v_sub_f32_e32 v4, v13, v18
	v_fma_f32 v2, v14, v16, -v25
	v_sub_f32_e32 v6, v12, v1
	s_delay_alu instid0(VALU_DEP_3) | instskip(NEXT) | instid1(VALU_DEP_3)
	v_fma_f32 v7, v13, 2.0, -v4
	v_sub_f32_e32 v1, v0, v2
	s_delay_alu instid0(VALU_DEP_3) | instskip(SKIP_1) | instid1(VALU_DEP_1)
	v_fma_f32 v12, v12, 2.0, -v6
	v_fmac_f32_e32 v17, v15, v16
	v_sub_f32_e32 v3, v5, v17
	s_delay_alu instid0(VALU_DEP_1) | instskip(SKIP_2) | instid1(VALU_DEP_2)
	v_fma_f32 v2, v5, 2.0, -v3
	v_fma_f32 v5, v0, 2.0, -v1
	v_dual_add_f32 v1, v4, v1 :: v_dual_sub_f32 v0, v6, v3
	v_dual_sub_f32 v3, v7, v2 :: v_dual_sub_f32 v2, v12, v5
	s_delay_alu instid0(VALU_DEP_2) | instskip(NEXT) | instid1(VALU_DEP_3)
	v_fma_f32 v5, v4, 2.0, -v1
	v_fma_f32 v4, v6, 2.0, -v0
	s_delay_alu instid0(VALU_DEP_3) | instskip(NEXT) | instid1(VALU_DEP_4)
	v_fma_f32 v7, v7, 2.0, -v3
	v_fma_f32 v6, v12, 2.0, -v2
	ds_store_2addr_b64 v23, v[6:7], v[4:5] offset0:20 offset1:45
	ds_store_2addr_b64 v23, v[2:3], v[0:1] offset0:70 offset1:95
.LBB0_8:
	s_wait_alu 0xfffe
	s_or_b32 exec_lo, exec_lo, s3
	global_wb scope:SCOPE_SE
	s_wait_dscnt 0x0
	s_barrier_signal -1
	s_barrier_wait -1
	global_inv scope:SCOPE_SE
	ds_load_b64 v[2:3], v21
	v_sub_nc_u32_e32 v4, v20, v22
	v_cmp_ne_u16_e64 s2, 0, v9
                                        ; implicit-def: $vgpr1
                                        ; implicit-def: $vgpr5
	s_delay_alu instid0(VALU_DEP_1)
	s_and_saveexec_b32 s3, s2
	s_wait_alu 0xfffe
	s_xor_b32 s2, exec_lo, s3
	s_cbranch_execz .LBB0_10
; %bb.9:
	v_and_b32_e32 v0, 0xffff, v9
	s_delay_alu instid0(VALU_DEP_1)
	v_lshlrev_b32_e32 v0, 3, v0
	global_load_b64 v[6:7], v0, s[4:5] offset:760
	ds_load_b64 v[0:1], v4 offset:800
	s_wait_dscnt 0x0
	v_dual_sub_f32 v5, v2, v0 :: v_dual_add_f32 v12, v1, v3
	v_dual_sub_f32 v1, v3, v1 :: v_dual_add_f32 v0, v0, v2
	s_delay_alu instid0(VALU_DEP_2) | instskip(NEXT) | instid1(VALU_DEP_2)
	v_dual_mul_f32 v3, 0.5, v5 :: v_dual_mul_f32 v2, 0.5, v12
	v_mul_f32_e32 v1, 0.5, v1
	s_wait_loadcnt 0x0
	s_delay_alu instid0(VALU_DEP_2) | instskip(NEXT) | instid1(VALU_DEP_2)
	v_mul_f32_e32 v5, v7, v3
	v_fma_f32 v12, v2, v7, v1
	v_fma_f32 v1, v2, v7, -v1
	s_delay_alu instid0(VALU_DEP_3) | instskip(SKIP_1) | instid1(VALU_DEP_4)
	v_fma_f32 v13, 0.5, v0, v5
	v_fma_f32 v0, v0, 0.5, -v5
	v_fma_f32 v5, -v6, v3, v12
	s_delay_alu instid0(VALU_DEP_4) | instskip(NEXT) | instid1(VALU_DEP_4)
	v_fma_f32 v1, -v6, v3, v1
	v_fmac_f32_e32 v13, v6, v2
	s_delay_alu instid0(VALU_DEP_4)
	v_fma_f32 v0, -v6, v2, v0
                                        ; implicit-def: $vgpr2_vgpr3
	ds_store_b32 v21, v13
.LBB0_10:
	s_wait_alu 0xfffe
	s_and_not1_saveexec_b32 s2, s2
	s_cbranch_execz .LBB0_12
; %bb.11:
	ds_load_b32 v1, v20 offset:404
	s_wait_dscnt 0x1
	v_dual_mov_b32 v5, 0 :: v_dual_add_f32 v6, v2, v3
	v_sub_f32_e32 v0, v2, v3
	s_wait_dscnt 0x0
	v_xor_b32_e32 v2, 0x80000000, v1
	s_delay_alu instid0(VALU_DEP_3)
	v_mov_b32_e32 v1, v5
	ds_store_b32 v21, v6
	ds_store_b32 v20, v2 offset:404
.LBB0_12:
	s_wait_alu 0xfffe
	s_or_b32 exec_lo, exec_lo, s2
	v_mov_b32_e32 v12, 0
	s_mov_b32 s3, exec_lo
	s_wait_dscnt 0x0
	s_delay_alu instid0(VALU_DEP_1) | instskip(NEXT) | instid1(VALU_DEP_1)
	v_lshlrev_b64_e32 v[2:3], 3, v[11:12]
	v_add_co_u32 v2, s2, s4, v2
	s_wait_alu 0xf1ff
	s_delay_alu instid0(VALU_DEP_2)
	v_add_co_ci_u32_e64 v3, s2, s5, v3, s2
	global_load_b64 v[2:3], v[2:3], off offset:760
	ds_store_b32 v21, v5 offset:4
	ds_store_b64 v4, v[0:1] offset:800
	ds_load_b64 v[0:1], v24
	ds_load_b64 v[5:6], v4 offset:640
	s_wait_dscnt 0x0
	v_sub_f32_e32 v7, v0, v5
	v_add_f32_e32 v11, v1, v6
	v_sub_f32_e32 v1, v1, v6
	s_delay_alu instid0(VALU_DEP_3) | instskip(NEXT) | instid1(VALU_DEP_3)
	v_dual_add_f32 v5, v0, v5 :: v_dual_mul_f32 v6, 0.5, v7
	v_mul_f32_e32 v7, 0.5, v11
	s_wait_loadcnt 0x0
	s_delay_alu instid0(VALU_DEP_2) | instskip(NEXT) | instid1(VALU_DEP_1)
	v_mul_f32_e32 v11, v3, v6
	v_fma_f32 v0, 0.5, v5, v11
	v_fma_f32 v5, v5, 0.5, -v11
	s_delay_alu instid0(VALU_DEP_2) | instskip(NEXT) | instid1(VALU_DEP_1)
	v_dual_fmac_f32 v0, v2, v7 :: v_dual_mul_f32 v1, 0.5, v1
	v_fma_f32 v13, v7, v3, v1
	v_fma_f32 v3, v7, v3, -v1
	s_delay_alu instid0(VALU_DEP_2) | instskip(NEXT) | instid1(VALU_DEP_2)
	v_fma_f32 v1, -v2, v6, v13
	v_fma_f32 v3, -v2, v6, v3
	;; [unrolled: 1-line block ×3, first 2 shown]
	ds_store_b64 v24, v[0:1]
	ds_store_b64 v4, v[2:3] offset:640
	v_cmpx_gt_u16_e32 10, v9
	s_cbranch_execz .LBB0_14
; %bb.13:
	v_mov_b32_e32 v9, v12
	s_add_nc_u64 s[4:5], s[4:5], 0x2f8
	s_delay_alu instid0(VALU_DEP_1) | instskip(SKIP_1) | instid1(VALU_DEP_1)
	v_lshlrev_b64_e32 v[0:1], 3, v[8:9]
	s_wait_alu 0xfffe
	v_add_co_u32 v0, s2, s4, v0
	s_wait_alu 0xf1ff
	s_delay_alu instid0(VALU_DEP_2)
	v_add_co_ci_u32_e64 v1, s2, s5, v1, s2
	global_load_b64 v[0:1], v[0:1], off offset:320
	ds_load_b64 v[2:3], v21 offset:320
	ds_load_b64 v[5:6], v4 offset:480
	s_wait_dscnt 0x0
	v_sub_f32_e32 v7, v2, v5
	v_dual_add_f32 v9, v3, v6 :: v_dual_add_f32 v2, v2, v5
	s_delay_alu instid0(VALU_DEP_2) | instskip(NEXT) | instid1(VALU_DEP_2)
	v_dual_sub_f32 v3, v3, v6 :: v_dual_mul_f32 v6, 0.5, v7
	v_mul_f32_e32 v7, 0.5, v9
	s_delay_alu instid0(VALU_DEP_2) | instskip(SKIP_1) | instid1(VALU_DEP_3)
	v_mul_f32_e32 v3, 0.5, v3
	s_wait_loadcnt 0x0
	v_mul_f32_e32 v5, v1, v6
	s_delay_alu instid0(VALU_DEP_2) | instskip(SKIP_1) | instid1(VALU_DEP_3)
	v_fma_f32 v9, v7, v1, v3
	v_fma_f32 v3, v7, v1, -v3
	v_fma_f32 v1, 0.5, v2, v5
	v_fma_f32 v5, v2, 0.5, -v5
	s_delay_alu instid0(VALU_DEP_4) | instskip(NEXT) | instid1(VALU_DEP_4)
	v_fma_f32 v2, -v0, v6, v9
	v_fma_f32 v6, -v0, v6, v3
	s_delay_alu instid0(VALU_DEP_4) | instskip(NEXT) | instid1(VALU_DEP_4)
	v_fmac_f32_e32 v1, v0, v7
	v_fma_f32 v5, -v0, v7, v5
	ds_store_b64 v21, v[1:2] offset:320
	ds_store_b64 v4, v[5:6] offset:480
.LBB0_14:
	s_wait_alu 0xfffe
	s_or_b32 exec_lo, exec_lo, s3
	global_wb scope:SCOPE_SE
	s_wait_dscnt 0x0
	s_barrier_signal -1
	s_barrier_wait -1
	global_inv scope:SCOPE_SE
	s_and_saveexec_b32 s2, vcc_lo
	s_cbranch_execz .LBB0_17
; %bb.15:
	v_mad_co_u64_u32 v[0:1], null, s6, v10, 0
	s_load_b64 s[0:1], s[0:1], 0x58
	v_dual_mov_b32 v9, 0 :: v_dual_add_nc_u32 v14, 20, v8
	v_add_nc_u32_e32 v16, 40, v8
	s_delay_alu instid0(VALU_DEP_2) | instskip(NEXT) | instid1(VALU_DEP_4)
	v_dual_mov_b32 v17, v9 :: v_dual_add_nc_u32 v18, 60, v8
	v_mad_co_u64_u32 v[1:2], null, s7, v10, v[1:2]
	v_mov_b32_e32 v15, v9
	v_lshlrev_b64_e32 v[22:23], 3, v[8:9]
	v_lshl_add_u32 v2, v8, 3, v20
	v_dual_mov_b32 v19, v9 :: v_dual_add_nc_u32 v20, 0x50, v8
	s_delay_alu instid0(VALU_DEP_4)
	v_lshlrev_b64_e32 v[14:15], 3, v[14:15]
	v_lshlrev_b64_e32 v[0:1], 3, v[0:1]
	ds_load_2addr_b64 v[3:6], v2 offset1:20
	v_lshlrev_b64_e32 v[16:17], 3, v[16:17]
	v_mov_b32_e32 v21, v9
	ds_load_2addr_b64 v[10:13], v2 offset0:40 offset1:60
	v_lshlrev_b64_e32 v[18:19], 3, v[18:19]
	s_wait_kmcnt 0x0
	v_add_co_u32 v0, vcc_lo, s0, v0
	v_add_co_ci_u32_e32 v1, vcc_lo, s1, v1, vcc_lo
	ds_load_b64 v[24:25], v2 offset:640
	v_add_co_u32 v22, vcc_lo, v0, v22
	s_wait_alu 0xfffd
	v_add_co_ci_u32_e32 v23, vcc_lo, v1, v23, vcc_lo
	v_add_co_u32 v14, vcc_lo, v0, v14
	s_wait_alu 0xfffd
	v_add_co_ci_u32_e32 v15, vcc_lo, v1, v15, vcc_lo
	v_add_co_u32 v16, vcc_lo, v0, v16
	v_lshlrev_b64_e32 v[20:21], 3, v[20:21]
	s_wait_alu 0xfffd
	v_add_co_ci_u32_e32 v17, vcc_lo, v1, v17, vcc_lo
	v_add_co_u32 v18, vcc_lo, v0, v18
	s_wait_alu 0xfffd
	v_add_co_ci_u32_e32 v19, vcc_lo, v1, v19, vcc_lo
	v_add_co_u32 v20, vcc_lo, v0, v20
	s_wait_alu 0xfffd
	v_add_co_ci_u32_e32 v21, vcc_lo, v1, v21, vcc_lo
	v_cmp_eq_u32_e32 vcc_lo, 19, v8
	s_wait_dscnt 0x2
	s_clause 0x1
	global_store_b64 v[22:23], v[3:4], off
	global_store_b64 v[14:15], v[5:6], off
	s_wait_dscnt 0x1
	s_clause 0x1
	global_store_b64 v[16:17], v[10:11], off
	global_store_b64 v[18:19], v[12:13], off
	s_wait_dscnt 0x0
	global_store_b64 v[20:21], v[24:25], off
	s_and_b32 exec_lo, exec_lo, vcc_lo
	s_cbranch_execz .LBB0_17
; %bb.16:
	ds_load_b64 v[2:3], v2 offset:648
	s_wait_dscnt 0x0
	global_store_b64 v[0:1], v[2:3], off offset:800
.LBB0_17:
	s_nop 0
	s_sendmsg sendmsg(MSG_DEALLOC_VGPRS)
	s_endpgm
	.section	.rodata,"a",@progbits
	.p2align	6, 0x0
	.amdhsa_kernel fft_rtc_fwd_len100_factors_5_5_4_wgs_120_tpt_20_dim1_sp_op_CI_CI_unitstride_sbrr_R2C_dirReg
		.amdhsa_group_segment_fixed_size 0
		.amdhsa_private_segment_fixed_size 0
		.amdhsa_kernarg_size 96
		.amdhsa_user_sgpr_count 2
		.amdhsa_user_sgpr_dispatch_ptr 0
		.amdhsa_user_sgpr_queue_ptr 0
		.amdhsa_user_sgpr_kernarg_segment_ptr 1
		.amdhsa_user_sgpr_dispatch_id 0
		.amdhsa_user_sgpr_private_segment_size 0
		.amdhsa_wavefront_size32 1
		.amdhsa_uses_dynamic_stack 0
		.amdhsa_enable_private_segment 0
		.amdhsa_system_sgpr_workgroup_id_x 1
		.amdhsa_system_sgpr_workgroup_id_y 0
		.amdhsa_system_sgpr_workgroup_id_z 0
		.amdhsa_system_sgpr_workgroup_info 0
		.amdhsa_system_vgpr_workitem_id 0
		.amdhsa_next_free_vgpr 36
		.amdhsa_next_free_sgpr 12
		.amdhsa_reserve_vcc 1
		.amdhsa_float_round_mode_32 0
		.amdhsa_float_round_mode_16_64 0
		.amdhsa_float_denorm_mode_32 3
		.amdhsa_float_denorm_mode_16_64 3
		.amdhsa_fp16_overflow 0
		.amdhsa_workgroup_processor_mode 1
		.amdhsa_memory_ordered 1
		.amdhsa_forward_progress 0
		.amdhsa_round_robin_scheduling 0
		.amdhsa_exception_fp_ieee_invalid_op 0
		.amdhsa_exception_fp_denorm_src 0
		.amdhsa_exception_fp_ieee_div_zero 0
		.amdhsa_exception_fp_ieee_overflow 0
		.amdhsa_exception_fp_ieee_underflow 0
		.amdhsa_exception_fp_ieee_inexact 0
		.amdhsa_exception_int_div_zero 0
	.end_amdhsa_kernel
	.text
.Lfunc_end0:
	.size	fft_rtc_fwd_len100_factors_5_5_4_wgs_120_tpt_20_dim1_sp_op_CI_CI_unitstride_sbrr_R2C_dirReg, .Lfunc_end0-fft_rtc_fwd_len100_factors_5_5_4_wgs_120_tpt_20_dim1_sp_op_CI_CI_unitstride_sbrr_R2C_dirReg
                                        ; -- End function
	.section	.AMDGPU.csdata,"",@progbits
; Kernel info:
; codeLenInByte = 3508
; NumSgprs: 14
; NumVgprs: 36
; ScratchSize: 0
; MemoryBound: 0
; FloatMode: 240
; IeeeMode: 1
; LDSByteSize: 0 bytes/workgroup (compile time only)
; SGPRBlocks: 1
; VGPRBlocks: 4
; NumSGPRsForWavesPerEU: 14
; NumVGPRsForWavesPerEU: 36
; Occupancy: 16
; WaveLimiterHint : 1
; COMPUTE_PGM_RSRC2:SCRATCH_EN: 0
; COMPUTE_PGM_RSRC2:USER_SGPR: 2
; COMPUTE_PGM_RSRC2:TRAP_HANDLER: 0
; COMPUTE_PGM_RSRC2:TGID_X_EN: 1
; COMPUTE_PGM_RSRC2:TGID_Y_EN: 0
; COMPUTE_PGM_RSRC2:TGID_Z_EN: 0
; COMPUTE_PGM_RSRC2:TIDIG_COMP_CNT: 0
	.text
	.p2alignl 7, 3214868480
	.fill 96, 4, 3214868480
	.type	__hip_cuid_afdf5549455c7d56,@object ; @__hip_cuid_afdf5549455c7d56
	.section	.bss,"aw",@nobits
	.globl	__hip_cuid_afdf5549455c7d56
__hip_cuid_afdf5549455c7d56:
	.byte	0                               ; 0x0
	.size	__hip_cuid_afdf5549455c7d56, 1

	.ident	"AMD clang version 19.0.0git (https://github.com/RadeonOpenCompute/llvm-project roc-6.4.0 25133 c7fe45cf4b819c5991fe208aaa96edf142730f1d)"
	.section	".note.GNU-stack","",@progbits
	.addrsig
	.addrsig_sym __hip_cuid_afdf5549455c7d56
	.amdgpu_metadata
---
amdhsa.kernels:
  - .args:
      - .actual_access:  read_only
        .address_space:  global
        .offset:         0
        .size:           8
        .value_kind:     global_buffer
      - .actual_access:  read_only
        .address_space:  global
        .offset:         8
        .size:           8
        .value_kind:     global_buffer
      - .actual_access:  read_only
        .address_space:  global
        .offset:         16
        .size:           8
        .value_kind:     global_buffer
      - .actual_access:  read_only
        .address_space:  global
        .offset:         24
        .size:           8
        .value_kind:     global_buffer
      - .offset:         32
        .size:           8
        .value_kind:     by_value
      - .actual_access:  read_only
        .address_space:  global
        .offset:         40
        .size:           8
        .value_kind:     global_buffer
      - .actual_access:  read_only
        .address_space:  global
        .offset:         48
        .size:           8
        .value_kind:     global_buffer
      - .offset:         56
        .size:           4
        .value_kind:     by_value
      - .actual_access:  read_only
        .address_space:  global
        .offset:         64
        .size:           8
        .value_kind:     global_buffer
      - .actual_access:  read_only
        .address_space:  global
        .offset:         72
        .size:           8
        .value_kind:     global_buffer
      - .actual_access:  read_only
        .address_space:  global
        .offset:         80
        .size:           8
        .value_kind:     global_buffer
      - .actual_access:  write_only
        .address_space:  global
        .offset:         88
        .size:           8
        .value_kind:     global_buffer
    .group_segment_fixed_size: 0
    .kernarg_segment_align: 8
    .kernarg_segment_size: 96
    .language:       OpenCL C
    .language_version:
      - 2
      - 0
    .max_flat_workgroup_size: 120
    .name:           fft_rtc_fwd_len100_factors_5_5_4_wgs_120_tpt_20_dim1_sp_op_CI_CI_unitstride_sbrr_R2C_dirReg
    .private_segment_fixed_size: 0
    .sgpr_count:     14
    .sgpr_spill_count: 0
    .symbol:         fft_rtc_fwd_len100_factors_5_5_4_wgs_120_tpt_20_dim1_sp_op_CI_CI_unitstride_sbrr_R2C_dirReg.kd
    .uniform_work_group_size: 1
    .uses_dynamic_stack: false
    .vgpr_count:     36
    .vgpr_spill_count: 0
    .wavefront_size: 32
    .workgroup_processor_mode: 1
amdhsa.target:   amdgcn-amd-amdhsa--gfx1201
amdhsa.version:
  - 1
  - 2
...

	.end_amdgpu_metadata
